;; amdgpu-corpus repo=ROCm/rocFFT kind=compiled arch=gfx906 opt=O3
	.text
	.amdgcn_target "amdgcn-amd-amdhsa--gfx906"
	.amdhsa_code_object_version 6
	.protected	bluestein_single_back_len110_dim1_sp_op_CI_CI ; -- Begin function bluestein_single_back_len110_dim1_sp_op_CI_CI
	.globl	bluestein_single_back_len110_dim1_sp_op_CI_CI
	.p2align	8
	.type	bluestein_single_back_len110_dim1_sp_op_CI_CI,@function
bluestein_single_back_len110_dim1_sp_op_CI_CI: ; @bluestein_single_back_len110_dim1_sp_op_CI_CI
; %bb.0:
	v_mul_u32_u24_e32 v1, 0x1746, v0
	s_load_dwordx4 s[8:11], s[4:5], 0x28
	v_lshrrev_b32_e32 v1, 16, v1
	v_mad_u64_u32 v[68:69], s[0:1], s6, 18, v[1:2]
	v_mov_b32_e32 v69, 0
	s_waitcnt lgkmcnt(0)
	v_cmp_gt_u64_e32 vcc, s[8:9], v[68:69]
	s_and_saveexec_b64 s[0:1], vcc
	s_cbranch_execz .LBB0_10
; %bb.1:
	s_load_dwordx4 s[0:3], s[4:5], 0x18
	s_load_dwordx4 s[12:15], s[4:5], 0x0
	v_mul_lo_u16_e32 v1, 11, v1
	v_sub_u16_e32 v83, v0, v1
	v_lshlrev_b32_e32 v86, 3, v83
	s_waitcnt lgkmcnt(0)
	s_load_dwordx4 s[16:19], s[0:1], 0x0
	global_load_dwordx2 v[73:74], v86, s[12:13] offset:440
	v_add_u32_e32 v24, 11, v83
	v_and_b32_e32 v25, 1, v83
	v_and_b32_e32 v26, 1, v24
	s_waitcnt lgkmcnt(0)
	v_mad_u64_u32 v[0:1], s[0:1], s18, v68, 0
	v_mad_u64_u32 v[2:3], s[0:1], s16, v83, 0
	s_mul_hi_u32 s7, s16, 0xfffffea0
	s_mul_i32 s6, s17, 0xfffffea0
	v_mad_u64_u32 v[4:5], s[0:1], s19, v68, v[1:2]
	s_sub_i32 s7, s7, s16
	s_add_i32 s6, s7, s6
	v_mad_u64_u32 v[5:6], s[0:1], s17, v83, v[3:4]
	v_mov_b32_e32 v1, v4
	v_lshlrev_b64 v[0:1], 3, v[0:1]
	v_mov_b32_e32 v6, s11
	v_mov_b32_e32 v3, v5
	v_add_co_u32_e32 v4, vcc, s10, v0
	v_addc_co_u32_e32 v5, vcc, v6, v1, vcc
	v_lshlrev_b64 v[0:1], 3, v[2:3]
	s_mul_i32 s0, s17, 0x1b8
	v_add_co_u32_e32 v0, vcc, v4, v0
	s_mul_hi_u32 s1, s16, 0x1b8
	v_addc_co_u32_e32 v1, vcc, v5, v1, vcc
	s_add_i32 s0, s1, s0
	s_mul_i32 s1, s16, 0x1b8
	global_load_dwordx2 v[2:3], v[0:1], off
	v_mov_b32_e32 v4, s0
	v_add_co_u32_e32 v0, vcc, s1, v0
	v_addc_co_u32_e32 v1, vcc, v1, v4, vcc
	s_mul_i32 s7, s16, 0xfffffea0
	v_mov_b32_e32 v5, s6
	v_add_co_u32_e32 v4, vcc, s7, v0
	v_addc_co_u32_e32 v5, vcc, v1, v5, vcc
	v_mov_b32_e32 v7, s0
	v_add_co_u32_e32 v6, vcc, s1, v4
	v_addc_co_u32_e32 v7, vcc, v5, v7, vcc
	;; [unrolled: 3-line block ×3, first 2 shown]
	global_load_dwordx2 v[77:78], v86, s[12:13]
	global_load_dwordx2 v[71:72], v86, s[12:13] offset:88
	global_load_dwordx2 v[10:11], v[0:1], off
	global_load_dwordx2 v[12:13], v[4:5], off
	;; [unrolled: 1-line block ×4, first 2 shown]
	v_mov_b32_e32 v1, s0
	v_add_co_u32_e32 v0, vcc, s1, v8
	v_addc_co_u32_e32 v1, vcc, v9, v1, vcc
	global_load_dwordx2 v[4:5], v[0:1], off
	global_load_dwordx2 v[75:76], v86, s[12:13] offset:528
	global_load_dwordx2 v[66:67], v86, s[12:13] offset:616
	v_mov_b32_e32 v6, s6
	v_add_co_u32_e32 v0, vcc, s7, v0
	v_addc_co_u32_e32 v1, vcc, v1, v6, vcc
	global_load_dwordx2 v[69:70], v86, s[12:13] offset:176
	global_load_dwordx2 v[6:7], v[0:1], off
	global_load_dwordx2 v[64:65], v86, s[12:13] offset:264
	v_mov_b32_e32 v8, s0
	v_add_co_u32_e32 v0, vcc, s1, v0
	v_addc_co_u32_e32 v1, vcc, v1, v8, vcc
	global_load_dwordx2 v[8:9], v[0:1], off
	global_load_dwordx2 v[62:63], v86, s[12:13] offset:704
	v_mov_b32_e32 v18, s6
	v_add_co_u32_e32 v0, vcc, s7, v0
	v_addc_co_u32_e32 v1, vcc, v1, v18, vcc
	;; [unrolled: 5-line block ×3, first 2 shown]
	global_load_dwordx2 v[20:21], v[0:1], off
	global_load_dwordx2 v[58:59], v86, s[12:13] offset:792
	s_mov_b32 s0, 0x38e38e39
	v_mul_hi_u32 v0, v68, s0
	s_load_dwordx4 s[8:11], s[2:3], 0x0
	v_add_co_u32_e32 v79, vcc, s12, v86
	v_lshrrev_b32_e32 v0, 2, v0
	v_mul_lo_u32 v0, v0, 18
	s_load_dwordx2 s[2:3], s[4:5], 0x38
                                        ; implicit-def: $vgpr81
	v_sub_u32_e32 v0, v68, v0
	v_mul_u32_u24_e32 v1, 0x6e, v0
	v_lshlrev_b32_e32 v85, 3, v1
	v_add_u32_e32 v84, v86, v85
	v_lshl_add_u32 v88, v24, 4, v85
	v_lshl_add_u32 v91, v83, 4, v85
	s_waitcnt vmcnt(17)
	v_mul_f32_e32 v0, v3, v78
	v_mul_f32_e32 v1, v2, v78
	v_fmac_f32_e32 v0, v2, v77
	v_fma_f32 v1, v3, v77, -v1
	s_waitcnt vmcnt(15)
	v_mul_f32_e32 v2, v11, v74
	v_mul_f32_e32 v3, v10, v74
	v_fmac_f32_e32 v2, v10, v73
	v_fma_f32 v3, v11, v73, -v3
	ds_write_b64 v84, v[2:3] offset:440
	s_waitcnt vmcnt(14)
	v_mul_f32_e32 v2, v13, v72
	v_mul_f32_e32 v3, v12, v72
	v_fmac_f32_e32 v2, v12, v71
	v_fma_f32 v3, v13, v71, -v3
	s_waitcnt vmcnt(9)
	v_mul_f32_e32 v10, v5, v67
	ds_write2_b64 v84, v[0:1], v[2:3] offset1:11
	v_mul_f32_e32 v0, v15, v76
	v_mul_f32_e32 v1, v14, v76
	v_fmac_f32_e32 v10, v4, v66
	v_mul_f32_e32 v4, v4, v67
	v_fmac_f32_e32 v0, v14, v75
	v_fma_f32 v1, v15, v75, -v1
	v_fma_f32 v11, v5, v66, -v4
	s_waitcnt vmcnt(8)
	v_mul_f32_e32 v2, v17, v70
	v_mul_f32_e32 v3, v16, v70
	ds_write2_b64 v84, v[0:1], v[10:11] offset0:66 offset1:77
	s_waitcnt vmcnt(6)
	v_mul_f32_e32 v0, v7, v65
	v_mul_f32_e32 v1, v6, v65
	v_fmac_f32_e32 v2, v16, v69
	v_fma_f32 v3, v17, v69, -v3
	v_fmac_f32_e32 v0, v6, v64
	v_fma_f32 v1, v7, v64, -v1
	ds_write2_b64 v84, v[2:3], v[0:1] offset0:22 offset1:33
	s_waitcnt vmcnt(2)
	v_mul_f32_e32 v2, v19, v61
	v_mul_f32_e32 v3, v18, v61
	v_fmac_f32_e32 v2, v18, v60
	v_fma_f32 v3, v19, v60, -v3
	v_mul_f32_e32 v0, v9, v63
	v_mul_f32_e32 v1, v8, v63
	ds_write_b64 v84, v[2:3] offset:352
	s_waitcnt vmcnt(0)
	v_mul_f32_e32 v2, v21, v59
	v_mul_f32_e32 v3, v20, v59
	v_fmac_f32_e32 v0, v8, v62
	v_fma_f32 v1, v9, v62, -v1
	v_fmac_f32_e32 v2, v20, v58
	v_fma_f32 v3, v21, v58, -v3
	ds_write2_b64 v84, v[0:1], v[2:3] offset0:88 offset1:99
	s_waitcnt lgkmcnt(0)
	s_barrier
	ds_read2_b64 v[0:3], v84 offset1:11
	ds_read2_b64 v[4:7], v84 offset0:44 offset1:55
	ds_read2_b64 v[8:11], v84 offset0:66 offset1:77
	;; [unrolled: 1-line block ×4, first 2 shown]
	s_waitcnt lgkmcnt(0)
	s_barrier
	v_sub_f32_e32 v8, v2, v8
	v_sub_f32_e32 v22, v0, v6
	v_fma_f32 v6, v2, 2.0, -v8
	v_sub_f32_e32 v2, v12, v10
	v_fma_f32 v20, v0, 2.0, -v22
	;; [unrolled: 2-line block ×3, first 2 shown]
	v_sub_f32_e32 v12, v14, v16
	v_sub_f32_e32 v16, v4, v18
	;; [unrolled: 1-line block ×3, first 2 shown]
	v_fma_f32 v7, v3, 2.0, -v9
	v_sub_f32_e32 v3, v13, v11
	v_fma_f32 v10, v14, 2.0, -v12
	v_fma_f32 v14, v4, 2.0, -v16
	v_lshlrev_b16_e32 v4, 1, v83
	v_fma_f32 v21, v1, 2.0, -v23
	v_fma_f32 v1, v13, 2.0, -v3
	v_sub_f32_e32 v13, v15, v17
	v_sub_f32_e32 v17, v5, v19
	v_lshl_add_u32 v87, v4, 3, v85
	v_fma_f32 v11, v15, 2.0, -v13
	v_fma_f32 v15, v5, 2.0, -v17
	ds_write_b128 v87, v[20:23]
	ds_write_b128 v88, v[6:9]
	ds_write_b128 v91, v[0:3] offset:352
	ds_write_b128 v91, v[10:13] offset:528
	;; [unrolled: 1-line block ×3, first 2 shown]
	v_lshlrev_b32_e32 v16, 5, v25
	s_waitcnt lgkmcnt(0)
	s_barrier
	global_load_dwordx4 v[0:3], v16, s[14:15]
	v_lshlrev_b32_e32 v17, 5, v26
	global_load_dwordx4 v[4:7], v17, s[14:15]
	global_load_dwordx4 v[8:11], v16, s[14:15] offset:16
	global_load_dwordx4 v[12:15], v17, s[14:15] offset:16
	ds_read2_b64 v[16:19], v84 offset0:22 offset1:33
	ds_read2_b64 v[20:23], v84 offset0:44 offset1:55
	ds_read2_b64 v[42:45], v84 offset1:11
	s_waitcnt vmcnt(3) lgkmcnt(2)
	v_mul_f32_e32 v27, v17, v1
	v_fma_f32 v27, v16, v0, -v27
	v_mul_f32_e32 v28, v16, v1
	s_waitcnt lgkmcnt(1)
	v_mul_f32_e32 v16, v21, v3
	v_fma_f32 v29, v20, v2, -v16
	s_waitcnt vmcnt(2)
	v_mul_f32_e32 v16, v19, v5
	v_mul_f32_e32 v32, v18, v5
	v_fmac_f32_e32 v28, v17, v0
	v_fma_f32 v31, v18, v4, -v16
	v_fmac_f32_e32 v32, v19, v4
	ds_read2_b64 v[16:19], v84 offset0:66 offset1:77
	v_mul_f32_e32 v30, v20, v3
	v_mul_f32_e32 v20, v23, v7
	v_fma_f32 v33, v22, v6, -v20
	v_mul_f32_e32 v34, v22, v7
	s_waitcnt vmcnt(1) lgkmcnt(0)
	v_mul_f32_e32 v20, v17, v9
	v_fmac_f32_e32 v30, v21, v2
	v_fmac_f32_e32 v34, v23, v6
	v_fma_f32 v35, v16, v8, -v20
	ds_read2_b64 v[20:23], v84 offset0:88 offset1:99
	v_mul_f32_e32 v16, v16, v9
	v_fmac_f32_e32 v16, v17, v8
	s_waitcnt vmcnt(0)
	v_mul_f32_e32 v17, v19, v13
	v_fma_f32 v17, v18, v12, -v17
	v_mul_f32_e32 v18, v18, v13
	v_fmac_f32_e32 v18, v19, v12
	s_waitcnt lgkmcnt(0)
	v_mul_f32_e32 v19, v21, v11
	v_fma_f32 v19, v20, v10, -v19
	v_mul_f32_e32 v20, v20, v11
	v_fmac_f32_e32 v20, v21, v10
	v_mul_f32_e32 v21, v23, v15
	v_add_f32_e32 v37, v29, v35
	v_fma_f32 v21, v22, v14, -v21
	v_mul_f32_e32 v22, v22, v15
	v_fma_f32 v40, -0.5, v37, v42
	v_fmac_f32_e32 v22, v23, v14
	v_mov_b32_e32 v23, s13
	v_mov_b32_e32 v38, v40
	v_sub_f32_e32 v37, v28, v20
	v_addc_co_u32_e32 v80, vcc, 0, v23, vcc
	v_sub_f32_e32 v23, v27, v29
	v_sub_f32_e32 v36, v19, v35
	v_fmac_f32_e32 v38, 0x3f737871, v37
	v_sub_f32_e32 v39, v30, v16
	v_fmac_f32_e32 v40, 0xbf737871, v37
	v_add_f32_e32 v23, v23, v36
	v_fmac_f32_e32 v38, 0x3f167918, v39
	v_fmac_f32_e32 v40, 0xbf167918, v39
	;; [unrolled: 1-line block ×4, first 2 shown]
	v_sub_f32_e32 v23, v29, v27
	v_sub_f32_e32 v41, v35, v19
	v_add_f32_e32 v23, v23, v41
	v_add_f32_e32 v41, v27, v19
	v_fma_f32 v48, -0.5, v41, v42
	v_mov_b32_e32 v46, v48
	v_fmac_f32_e32 v46, 0xbf737871, v39
	v_fmac_f32_e32 v48, 0x3f737871, v39
	;; [unrolled: 1-line block ×6, first 2 shown]
	v_add_f32_e32 v23, v43, v28
	v_add_f32_e32 v23, v23, v30
	;; [unrolled: 1-line block ×8, first 2 shown]
	v_fma_f32 v41, -0.5, v23, v43
	v_add_f32_e32 v36, v36, v19
	v_sub_f32_e32 v19, v27, v19
	v_mov_b32_e32 v39, v41
	v_sub_f32_e32 v23, v29, v35
	v_sub_f32_e32 v27, v28, v30
	;; [unrolled: 1-line block ×3, first 2 shown]
	v_fmac_f32_e32 v39, 0xbf737871, v19
	v_fmac_f32_e32 v41, 0x3f737871, v19
	v_add_f32_e32 v27, v27, v29
	v_fmac_f32_e32 v39, 0xbf167918, v23
	v_fmac_f32_e32 v41, 0x3f167918, v23
	;; [unrolled: 1-line block ×4, first 2 shown]
	v_add_f32_e32 v27, v28, v20
	v_fma_f32 v49, -0.5, v27, v43
	v_mov_b32_e32 v47, v49
	v_sub_f32_e32 v27, v30, v28
	v_sub_f32_e32 v16, v16, v20
	v_fmac_f32_e32 v47, 0x3f737871, v23
	v_fmac_f32_e32 v49, 0xbf737871, v23
	v_add_f32_e32 v16, v27, v16
	v_fmac_f32_e32 v47, 0xbf167918, v19
	v_fmac_f32_e32 v49, 0x3f167918, v19
	;; [unrolled: 1-line block ×4, first 2 shown]
	v_add_f32_e32 v16, v44, v31
	v_add_f32_e32 v16, v16, v33
	v_add_f32_e32 v16, v16, v17
	v_add_f32_e32 v42, v16, v21
	v_sub_f32_e32 v16, v31, v33
	v_sub_f32_e32 v19, v21, v17
	v_add_f32_e32 v16, v16, v19
	v_add_f32_e32 v19, v33, v17
	v_fma_f32 v52, -0.5, v19, v44
	v_sub_f32_e32 v20, v32, v22
	v_mov_b32_e32 v54, v52
	v_fmac_f32_e32 v54, 0x3f737871, v20
	v_sub_f32_e32 v19, v34, v18
	v_fmac_f32_e32 v52, 0xbf737871, v20
	v_fmac_f32_e32 v54, 0x3f167918, v19
	;; [unrolled: 1-line block ×5, first 2 shown]
	v_add_f32_e32 v16, v31, v21
	v_fma_f32 v44, -0.5, v16, v44
	v_mov_b32_e32 v56, v44
	v_sub_f32_e32 v16, v33, v31
	v_sub_f32_e32 v23, v17, v21
	v_fmac_f32_e32 v56, 0xbf737871, v19
	v_fmac_f32_e32 v44, 0x3f737871, v19
	v_add_f32_e32 v16, v16, v23
	v_fmac_f32_e32 v56, 0x3f167918, v20
	v_fmac_f32_e32 v44, 0xbf167918, v20
	;; [unrolled: 1-line block ×4, first 2 shown]
	v_add_f32_e32 v16, v45, v32
	v_add_f32_e32 v16, v16, v34
	;; [unrolled: 1-line block ×5, first 2 shown]
	v_fma_f32 v53, -0.5, v16, v45
	v_sub_f32_e32 v16, v31, v21
	v_mov_b32_e32 v55, v53
	v_sub_f32_e32 v17, v33, v17
	v_sub_f32_e32 v19, v32, v34
	;; [unrolled: 1-line block ×3, first 2 shown]
	v_fmac_f32_e32 v55, 0xbf737871, v16
	v_fmac_f32_e32 v53, 0x3f737871, v16
	v_add_f32_e32 v19, v19, v20
	v_fmac_f32_e32 v55, 0xbf167918, v17
	v_fmac_f32_e32 v53, 0x3f167918, v17
	;; [unrolled: 1-line block ×4, first 2 shown]
	v_add_f32_e32 v19, v32, v22
	v_fmac_f32_e32 v45, -0.5, v19
	v_mov_b32_e32 v57, v45
	v_fmac_f32_e32 v57, 0x3f737871, v17
	v_fmac_f32_e32 v45, 0xbf737871, v17
	;; [unrolled: 1-line block ×4, first 2 shown]
	v_lshrrev_b32_e32 v16, 1, v83
	v_lshrrev_b32_e32 v17, 1, v24
	v_sub_f32_e32 v19, v34, v32
	v_sub_f32_e32 v18, v18, v22
	v_mul_u32_u24_e32 v16, 10, v16
	v_mul_u32_u24_e32 v17, 10, v17
	v_add_f32_e32 v18, v19, v18
	v_or_b32_e32 v16, v16, v25
	v_or_b32_e32 v17, v17, v26
	v_fmac_f32_e32 v57, 0x3e9e377a, v18
	v_fmac_f32_e32 v45, 0x3e9e377a, v18
	v_lshl_add_u32 v90, v16, 3, v85
	v_lshl_add_u32 v89, v17, 3, v85
	v_cmp_gt_u16_e32 vcc, 10, v83
	s_barrier
	ds_write2_b64 v90, v[36:37], v[38:39] offset1:2
	ds_write2_b64 v90, v[46:47], v[48:49] offset0:4 offset1:6
	ds_write_b64 v90, v[40:41] offset:64
	ds_write2_b64 v89, v[42:43], v[54:55] offset1:2
	ds_write2_b64 v89, v[56:57], v[44:45] offset0:4 offset1:6
	ds_write_b64 v89, v[52:53] offset:64
	s_waitcnt lgkmcnt(0)
	s_barrier
	s_and_saveexec_b64 s[0:1], vcc
	s_cbranch_execz .LBB0_3
; %bb.2:
	ds_read2_b64 v[36:39], v84 offset1:10
	ds_read2_b64 v[46:49], v84 offset0:20 offset1:30
	ds_read2_b64 v[40:43], v84 offset0:40 offset1:50
	;; [unrolled: 1-line block ×4, first 2 shown]
	ds_read_b64 v[81:82], v84 offset:800
	s_waitcnt lgkmcnt(2)
	v_mov_b32_e32 v44, v50
	v_mov_b32_e32 v45, v51
.LBB0_3:
	s_or_b64 exec, exec, s[0:1]
	v_add_u32_e32 v16, -10, v83
	v_cndmask_b32_e32 v16, v16, v83, vcc
	v_mul_hi_i32_i24_e32 v17, 0x50, v16
	v_mul_i32_i24_e32 v16, 0x50, v16
	v_mov_b32_e32 v18, s15
	v_add_co_u32_e64 v50, s[0:1], s14, v16
	v_addc_co_u32_e64 v51, s[0:1], v18, v17, s[0:1]
	global_load_dwordx4 v[28:31], v[50:51], off offset:64
	global_load_dwordx4 v[20:23], v[50:51], off offset:80
	global_load_dwordx4 v[16:19], v[50:51], off offset:96
	global_load_dwordx4 v[24:27], v[50:51], off offset:112
	global_load_dwordx4 v[32:35], v[50:51], off offset:128
	s_mov_b32 s4, 0x3f575c64
	s_mov_b32 s5, 0x3ed4b147
	;; [unrolled: 1-line block ×5, first 2 shown]
	s_waitcnt vmcnt(4)
	v_mul_f32_e32 v50, v38, v29
	v_mul_f32_e32 v51, v46, v31
	v_fmac_f32_e32 v50, v39, v28
	s_waitcnt vmcnt(1) lgkmcnt(1)
	v_mul_f32_e32 v96, v56, v25
	s_waitcnt vmcnt(0) lgkmcnt(0)
	v_mul_f32_e32 v100, v81, v35
	v_mul_f32_e32 v108, v53, v33
	v_mul_f32_e32 v98, v52, v33
	v_fmac_f32_e32 v100, v82, v34
	v_mul_f32_e32 v99, v39, v29
	v_mul_f32_e32 v92, v48, v21
	;; [unrolled: 1-line block ×6, first 2 shown]
	v_fmac_f32_e32 v51, v47, v30
	v_fmac_f32_e32 v96, v57, v24
	v_fma_f32 v57, v52, v32, -v108
	v_fmac_f32_e32 v98, v53, v32
	v_sub_f32_e32 v108, v50, v100
	v_mul_f32_e32 v101, v47, v31
	v_mul_f32_e32 v93, v40, v23
	;; [unrolled: 1-line block ×3, first 2 shown]
	v_fma_f32 v99, v38, v28, -v99
	v_fmac_f32_e32 v92, v49, v20
	v_fma_f32 v54, v54, v18, -v105
	v_fmac_f32_e32 v97, v45, v26
	v_fma_f32 v53, v81, v34, -v109
	v_sub_f32_e32 v109, v51, v98
	v_mul_f32_e32 v105, 0xbf0a6770, v108
	v_mul_f32_e32 v102, v49, v21
	;; [unrolled: 1-line block ×4, first 2 shown]
	v_fma_f32 v101, v46, v30, -v101
	v_fmac_f32_e32 v93, v41, v22
	v_fmac_f32_e32 v95, v55, v18
	v_fma_f32 v55, v56, v24, -v106
	v_add_f32_e32 v41, v99, v53
	v_sub_f32_e32 v115, v99, v53
	v_sub_f32_e32 v110, v92, v97
	v_mul_f32_e32 v106, 0xbf68dda4, v109
	v_mov_b32_e32 v38, v105
	v_mul_f32_e32 v94, v42, v17
	v_fma_f32 v102, v48, v20, -v102
	v_fma_f32 v103, v40, v22, -v103
	;; [unrolled: 1-line block ×3, first 2 shown]
	v_add_f32_e32 v47, v50, v100
	v_add_f32_e32 v44, v101, v57
	v_sub_f32_e32 v116, v101, v57
	v_mul_f32_e32 v111, 0xbf0a6770, v115
	v_mul_f32_e32 v107, 0xbf7d64f0, v110
	v_mov_b32_e32 v40, v106
	v_fmac_f32_e32 v38, 0x3f575c64, v41
	v_sub_f32_e32 v121, v93, v96
	v_mul_f32_e32 v104, v43, v17
	v_fmac_f32_e32 v94, v43, v16
	v_add_f32_e32 v48, v51, v98
	v_add_f32_e32 v45, v102, v56
	v_sub_f32_e32 v117, v102, v56
	v_mul_f32_e32 v112, 0xbf68dda4, v116
	v_fma_f32 v39, v47, s4, -v111
	v_mov_b32_e32 v43, v107
	v_fmac_f32_e32 v40, 0x3ed4b147, v44
	v_add_f32_e32 v38, v36, v38
	v_mul_f32_e32 v114, 0xbf4178ce, v121
	v_fma_f32 v104, v42, v16, -v104
	v_add_f32_e32 v49, v92, v97
	v_add_f32_e32 v46, v103, v55
	v_sub_f32_e32 v120, v103, v55
	v_mul_f32_e32 v113, 0xbf7d64f0, v117
	v_fma_f32 v42, v48, s5, -v112
	v_add_f32_e32 v39, v37, v39
	v_fmac_f32_e32 v43, 0xbe11bafb, v45
	v_add_f32_e32 v38, v40, v38
	v_mov_b32_e32 v40, v114
	v_add_f32_e32 v52, v93, v96
	v_fma_f32 v81, v49, s6, -v113
	v_add_f32_e32 v39, v42, v39
	v_add_f32_e32 v38, v43, v38
	v_mul_f32_e32 v119, 0xbf4178ce, v120
	v_fmac_f32_e32 v40, 0xbf27a4f4, v46
	v_sub_f32_e32 v123, v94, v95
	v_add_f32_e32 v39, v81, v39
	v_add_f32_e32 v38, v40, v38
	v_fma_f32 v40, v52, s7, -v119
	v_mul_f32_e32 v118, 0xbe903f40, v123
	v_add_f32_e32 v39, v40, v39
	v_add_f32_e32 v81, v104, v54
	v_sub_f32_e32 v124, v104, v54
	v_mov_b32_e32 v40, v118
	v_add_f32_e32 v82, v94, v95
	v_mul_f32_e32 v122, 0xbe903f40, v124
	v_fmac_f32_e32 v40, 0xbf75a155, v81
	v_add_f32_e32 v42, v40, v38
	v_fma_f32 v38, v82, s14, -v122
	v_add_f32_e32 v43, v38, v39
	v_add_u32_e32 v40, 0x160, v91
	v_add_u32_e32 v39, 0x210, v91
	;; [unrolled: 1-line block ×3, first 2 shown]
	s_and_saveexec_b64 s[0:1], vcc
	s_cbranch_execz .LBB0_5
; %bb.4:
	v_mul_f32_e32 v133, 0xbe11bafb, v47
	v_mov_b32_e32 v125, v133
	v_mul_f32_e32 v134, 0xbf75a155, v48
	v_fmac_f32_e32 v125, 0x3f7d64f0, v115
	v_mov_b32_e32 v126, v134
	v_add_f32_e32 v125, v37, v125
	v_fmac_f32_e32 v126, 0xbe903f40, v116
	v_mul_f32_e32 v144, 0x3ed4b147, v49
	v_add_f32_e32 v125, v126, v125
	v_mov_b32_e32 v126, v144
	v_fmac_f32_e32 v126, 0xbf68dda4, v117
	v_mul_f32_e32 v145, 0x3f575c64, v52
	v_add_f32_e32 v125, v126, v125
	v_mov_b32_e32 v126, v145
	v_fmac_f32_e32 v126, 0x3f0a6770, v120
	v_mul_f32_e32 v146, 0xbf27a4f4, v82
	v_add_f32_e32 v125, v126, v125
	v_mov_b32_e32 v126, v146
	v_fmac_f32_e32 v126, 0x3f4178ce, v124
	v_mul_f32_e32 v147, 0xbf7d64f0, v108
	v_add_f32_e32 v126, v126, v125
	v_mov_b32_e32 v125, v147
	v_mul_f32_e32 v148, 0x3e903f40, v109
	v_fmac_f32_e32 v125, 0xbe11bafb, v41
	v_mov_b32_e32 v127, v148
	v_add_f32_e32 v125, v36, v125
	v_fmac_f32_e32 v127, 0xbf75a155, v44
	v_mul_f32_e32 v149, 0x3f68dda4, v110
	v_add_f32_e32 v125, v127, v125
	v_mov_b32_e32 v127, v149
	v_fmac_f32_e32 v127, 0x3ed4b147, v45
	v_mul_f32_e32 v150, 0xbf0a6770, v121
	v_add_f32_e32 v125, v127, v125
	v_mov_b32_e32 v127, v150
	v_fmac_f32_e32 v127, 0x3f575c64, v46
	v_mul_f32_e32 v151, 0xbf4178ce, v123
	v_add_f32_e32 v125, v127, v125
	v_mov_b32_e32 v127, v151
	v_fmac_f32_e32 v127, 0xbf27a4f4, v81
	v_mul_f32_e32 v129, 0xbf75a155, v47
	v_add_f32_e32 v125, v127, v125
	v_mov_b32_e32 v127, v129
	v_mul_f32_e32 v130, 0x3f575c64, v48
	v_fmac_f32_e32 v127, 0x3e903f40, v115
	v_mov_b32_e32 v128, v130
	v_add_f32_e32 v127, v37, v127
	v_fmac_f32_e32 v128, 0xbf0a6770, v116
	v_mul_f32_e32 v131, 0xbf27a4f4, v49
	v_add_f32_e32 v127, v128, v127
	v_mov_b32_e32 v128, v131
	v_fmac_f32_e32 v128, 0x3f4178ce, v117
	v_mul_f32_e32 v132, 0x3ed4b147, v52
	v_add_f32_e32 v127, v128, v127
	v_mov_b32_e32 v128, v132
	v_fmac_f32_e32 v128, 0xbf68dda4, v120
	v_mul_f32_e32 v152, 0xbe11bafb, v82
	v_add_f32_e32 v127, v128, v127
	v_mov_b32_e32 v128, v152
	v_fmac_f32_e32 v128, 0x3f7d64f0, v124
	v_mul_f32_e32 v153, 0xbe903f40, v108
	v_add_f32_e32 v128, v128, v127
	v_mov_b32_e32 v127, v153
	v_mul_f32_e32 v154, 0x3f0a6770, v109
	v_fmac_f32_e32 v127, 0xbf75a155, v41
	v_mov_b32_e32 v155, v154
	v_fmac_f32_e32 v129, 0xbe903f40, v115
	v_add_f32_e32 v127, v36, v127
	v_fmac_f32_e32 v155, 0x3f575c64, v44
	v_add_f32_e32 v129, v37, v129
	v_fmac_f32_e32 v130, 0x3f0a6770, v116
	v_add_f32_e32 v127, v155, v127
	v_mul_f32_e32 v155, 0xbf4178ce, v110
	v_add_f32_e32 v129, v130, v129
	v_fmac_f32_e32 v131, 0xbf4178ce, v117
	v_mov_b32_e32 v156, v155
	v_add_f32_e32 v129, v131, v129
	v_fmac_f32_e32 v132, 0x3f68dda4, v120
	v_fmac_f32_e32 v133, 0xbf7d64f0, v115
	;; [unrolled: 1-line block ×3, first 2 shown]
	v_add_f32_e32 v129, v132, v129
	v_fmac_f32_e32 v152, 0xbf7d64f0, v124
	v_add_f32_e32 v133, v37, v133
	v_fmac_f32_e32 v134, 0x3e903f40, v116
	v_add_f32_e32 v127, v156, v127
	v_mul_f32_e32 v156, 0x3f68dda4, v121
	v_add_f32_e32 v130, v152, v129
	v_fma_f32 v129, v41, s14, -v153
	v_add_f32_e32 v133, v134, v133
	v_fmac_f32_e32 v144, 0x3f68dda4, v117
	v_mov_b32_e32 v157, v156
	v_add_f32_e32 v129, v36, v129
	v_fma_f32 v131, v44, s4, -v154
	v_add_f32_e32 v133, v144, v133
	v_fmac_f32_e32 v145, 0xbf0a6770, v120
	v_add_f32_e32 v50, v37, v50
	v_fmac_f32_e32 v157, 0x3ed4b147, v46
	v_add_f32_e32 v129, v131, v129
	v_fma_f32 v131, v45, s7, -v155
	v_add_f32_e32 v133, v145, v133
	v_fmac_f32_e32 v146, 0xbf4178ce, v124
	v_add_f32_e32 v50, v50, v51
	v_add_f32_e32 v127, v157, v127
	v_mul_f32_e32 v157, 0xbf7d64f0, v123
	v_add_f32_e32 v129, v131, v129
	v_fma_f32 v131, v46, s5, -v156
	v_add_f32_e32 v134, v146, v133
	v_fma_f32 v133, v41, s6, -v147
	v_add_f32_e32 v50, v50, v92
	v_add_f32_e32 v129, v131, v129
	v_fma_f32 v131, v81, s6, -v157
	v_mul_f32_e32 v152, 0xbf4178ce, v115
	v_add_f32_e32 v133, v36, v133
	v_fma_f32 v144, v44, s14, -v148
	v_add_f32_e32 v50, v50, v93
	v_add_f32_e32 v129, v131, v129
	v_mov_b32_e32 v131, v152
	v_mul_f32_e32 v153, 0x3f7d64f0, v116
	v_add_f32_e32 v133, v144, v133
	v_fma_f32 v144, v45, s5, -v149
	v_add_f32_e32 v50, v50, v94
	v_fmac_f32_e32 v131, 0xbf27a4f4, v47
	v_mov_b32_e32 v132, v153
	v_add_f32_e32 v133, v144, v133
	v_fma_f32 v144, v46, s4, -v150
	v_add_f32_e32 v50, v50, v95
	v_add_f32_e32 v131, v37, v131
	v_fmac_f32_e32 v132, 0xbe11bafb, v48
	v_mul_f32_e32 v154, 0xbf0a6770, v117
	v_add_f32_e32 v133, v144, v133
	v_fma_f32 v144, v81, s7, -v151
	v_add_f32_e32 v50, v50, v96
	v_add_f32_e32 v131, v132, v131
	v_mov_b32_e32 v132, v154
	v_add_f32_e32 v133, v144, v133
	v_mul_f32_e32 v144, 0xbf68dda4, v115
	v_add_f32_e32 v50, v50, v97
	v_fmac_f32_e32 v132, 0x3f575c64, v49
	v_mul_f32_e32 v155, 0xbe903f40, v120
	v_mov_b32_e32 v115, v144
	v_mul_f32_e32 v145, 0xbf4178ce, v116
	v_add_f32_e32 v50, v50, v98
	v_add_f32_e32 v131, v132, v131
	v_mov_b32_e32 v132, v155
	v_fmac_f32_e32 v115, 0x3ed4b147, v47
	v_mov_b32_e32 v116, v145
	v_add_f32_e32 v51, v50, v100
	v_add_f32_e32 v50, v36, v99
	v_fmac_f32_e32 v132, 0xbf75a155, v52
	v_mul_f32_e32 v156, 0x3f68dda4, v124
	v_add_f32_e32 v115, v37, v115
	v_fmac_f32_e32 v116, 0xbf27a4f4, v48
	v_mul_f32_e32 v117, 0x3e903f40, v117
	v_add_f32_e32 v50, v50, v101
	v_mov_b32_e32 v158, v157
	v_add_f32_e32 v131, v132, v131
	v_mov_b32_e32 v132, v156
	;; [unrolled: 2-line block ×3, first 2 shown]
	v_add_f32_e32 v50, v50, v102
	v_fmac_f32_e32 v158, 0xbe11bafb, v81
	v_fmac_f32_e32 v132, 0x3ed4b147, v82
	v_mul_f32_e32 v157, 0xbf4178ce, v108
	v_fmac_f32_e32 v116, 0xbf75a155, v49
	v_mul_f32_e32 v120, 0x3f7d64f0, v120
	v_add_f32_e32 v50, v50, v103
	v_add_f32_e32 v127, v158, v127
	;; [unrolled: 1-line block ×3, first 2 shown]
	v_fma_f32 v131, v41, s7, -v157
	v_mul_f32_e32 v158, 0x3f7d64f0, v109
	v_add_f32_e32 v115, v116, v115
	v_mov_b32_e32 v116, v120
	v_add_f32_e32 v50, v50, v104
	v_add_f32_e32 v131, v36, v131
	v_fma_f32 v159, v44, s6, -v158
	v_fmac_f32_e32 v116, 0xbe11bafb, v52
	v_mul_f32_e32 v124, 0x3f0a6770, v124
	v_add_f32_e32 v50, v50, v54
	v_add_f32_e32 v131, v159, v131
	v_mul_f32_e32 v159, 0xbf0a6770, v110
	v_add_f32_e32 v115, v116, v115
	v_mov_b32_e32 v116, v124
	v_mul_f32_e32 v146, 0xbf68dda4, v108
	v_add_f32_e32 v50, v50, v55
	v_fma_f32 v160, v45, s4, -v159
	v_fmac_f32_e32 v116, 0x3f575c64, v82
	v_fma_f32 v108, v41, s5, -v146
	v_mul_f32_e32 v109, 0xbf4178ce, v109
	v_add_f32_e32 v50, v50, v56
	v_add_f32_e32 v131, v160, v131
	v_mul_f32_e32 v160, 0xbe903f40, v121
	v_add_f32_e32 v116, v116, v115
	v_add_f32_e32 v108, v36, v108
	v_fma_f32 v115, v44, s7, -v109
	v_mul_f32_e32 v110, 0x3e903f40, v110
	v_add_f32_e32 v50, v50, v57
	v_fma_f32 v161, v46, s14, -v160
	v_add_f32_e32 v108, v115, v108
	v_fma_f32 v115, v45, s14, -v110
	v_mul_f32_e32 v121, 0x3f7d64f0, v121
	v_add_f32_e32 v50, v50, v53
	v_fma_f32 v53, v47, s7, -v152
	v_add_f32_e32 v131, v161, v131
	v_mul_f32_e32 v161, 0x3f68dda4, v123
	v_add_f32_e32 v108, v115, v108
	v_fma_f32 v115, v46, s6, -v121
	v_mul_f32_e32 v123, 0x3f0a6770, v123
	v_add_f32_e32 v53, v37, v53
	v_fma_f32 v54, v48, s6, -v153
	v_mul_f32_e32 v91, 0x3f575c64, v41
	v_mul_f32_e32 v135, 0x3f575c64, v47
	v_add_f32_e32 v108, v115, v108
	v_fma_f32 v115, v81, s4, -v123
	v_add_f32_e32 v53, v54, v53
	v_fma_f32 v54, v49, s4, -v154
	v_mul_f32_e32 v136, 0x3ed4b147, v44
	v_mul_f32_e32 v137, 0x3ed4b147, v48
	v_add_f32_e32 v115, v115, v108
	v_add_f32_e32 v108, v111, v135
	v_sub_f32_e32 v91, v91, v105
	v_add_f32_e32 v53, v54, v53
	v_fma_f32 v54, v52, s14, -v155
	v_mul_f32_e32 v138, 0xbe11bafb, v45
	v_mul_f32_e32 v139, 0xbe11bafb, v49
	v_add_f32_e32 v108, v37, v108
	v_add_f32_e32 v111, v112, v137
	;; [unrolled: 1-line block ×3, first 2 shown]
	v_sub_f32_e32 v105, v136, v106
	v_add_f32_e32 v53, v54, v53
	v_fma_f32 v54, v82, s5, -v156
	v_fmac_f32_e32 v157, 0xbf27a4f4, v41
	v_fma_f32 v47, v47, s5, -v144
	v_fmac_f32_e32 v146, 0x3ed4b147, v41
	v_mul_f32_e32 v140, 0xbf27a4f4, v46
	v_mul_f32_e32 v141, 0xbf27a4f4, v52
	v_add_f32_e32 v108, v111, v108
	v_add_f32_e32 v111, v113, v139
	;; [unrolled: 1-line block ×3, first 2 shown]
	v_sub_f32_e32 v105, v138, v107
	v_add_f32_e32 v54, v54, v53
	v_add_f32_e32 v53, v36, v157
	v_fmac_f32_e32 v158, 0xbe11bafb, v44
	v_add_f32_e32 v37, v37, v47
	v_fma_f32 v47, v48, s7, -v145
	v_add_f32_e32 v36, v36, v146
	v_fmac_f32_e32 v109, 0xbf27a4f4, v44
	v_mul_f32_e32 v142, 0xbf75a155, v81
	v_mul_f32_e32 v143, 0xbf75a155, v82
	v_add_f32_e32 v108, v111, v108
	v_add_f32_e32 v111, v119, v141
	;; [unrolled: 1-line block ×3, first 2 shown]
	v_sub_f32_e32 v105, v140, v114
	v_add_f32_e32 v53, v158, v53
	v_fmac_f32_e32 v159, 0x3f575c64, v45
	v_add_f32_e32 v37, v47, v37
	v_fma_f32 v47, v49, s14, -v117
	v_add_f32_e32 v36, v109, v36
	v_fmac_f32_e32 v110, 0xbf75a155, v45
	v_add_f32_e32 v108, v111, v108
	v_add_f32_e32 v111, v122, v143
	;; [unrolled: 1-line block ×3, first 2 shown]
	v_sub_f32_e32 v105, v142, v118
	v_add_f32_e32 v53, v159, v53
	v_fmac_f32_e32 v160, 0xbf75a155, v46
	v_add_f32_e32 v37, v47, v37
	v_fma_f32 v47, v52, s6, -v120
	v_add_f32_e32 v36, v110, v36
	v_fmac_f32_e32 v121, 0xbe11bafb, v46
	v_fma_f32 v162, v81, s5, -v161
	v_add_f32_e32 v108, v111, v108
	v_add_f32_e32 v107, v105, v91
	;; [unrolled: 1-line block ×3, first 2 shown]
	v_fmac_f32_e32 v161, 0x3ed4b147, v81
	v_add_f32_e32 v37, v47, v37
	v_fma_f32 v47, v82, s4, -v124
	v_add_f32_e32 v36, v121, v36
	v_fmac_f32_e32 v123, 0x3f575c64, v81
	v_lshl_add_u32 v41, v83, 3, v85
	v_add_f32_e32 v131, v162, v131
	v_add_f32_e32 v53, v161, v53
	;; [unrolled: 1-line block ×4, first 2 shown]
	ds_write_b64 v84, v[50:51]
	ds_write2_b64 v41, v[107:108], v[115:116] offset0:10 offset1:20
	ds_write2_b64 v41, v[133:134], v[131:132] offset0:30 offset1:40
	;; [unrolled: 1-line block ×5, first 2 shown]
.LBB0_5:
	s_or_b64 exec, exec, s[0:1]
	s_waitcnt lgkmcnt(0)
	s_barrier
	global_load_dwordx2 v[36:37], v[79:80], off offset:880
	s_add_u32 s0, s12, 0x370
	s_addc_u32 s1, s13, 0
	global_load_dwordx2 v[56:57], v86, s[0:1] offset:440
	global_load_dwordx2 v[95:96], v86, s[0:1] offset:88
	;; [unrolled: 1-line block ×9, first 2 shown]
	ds_read2_b64 v[44:47], v84 offset1:11
	ds_read2_b64 v[48:51], v84 offset0:44 offset1:55
	ds_read2_b64 v[52:55], v84 offset0:66 offset1:77
	;; [unrolled: 1-line block ×4, first 2 shown]
	s_waitcnt vmcnt(6) lgkmcnt(2)
	v_mul_f32_e32 v86, v53, v98
	s_waitcnt vmcnt(5) lgkmcnt(1)
	v_mul_f32_e32 v113, v80, v100
	s_waitcnt vmcnt(4)
	v_mul_f32_e32 v114, v55, v102
	v_mul_f32_e32 v41, v45, v37
	;; [unrolled: 1-line block ×3, first 2 shown]
	v_fma_f32 v111, v44, v36, -v41
	v_fmac_f32_e32 v112, v45, v36
	v_mul_f32_e32 v41, v47, v96
	v_mul_f32_e32 v45, v46, v96
	;; [unrolled: 1-line block ×7, first 2 shown]
	s_waitcnt vmcnt(3)
	v_mul_f32_e32 v115, v82, v104
	v_mul_f32_e32 v100, v81, v104
	s_waitcnt vmcnt(2) lgkmcnt(0)
	v_mul_f32_e32 v116, v92, v106
	v_mul_f32_e32 v102, v91, v106
	s_waitcnt vmcnt(1)
	v_mul_f32_e32 v117, v49, v108
	v_mul_f32_e32 v104, v48, v108
	s_waitcnt vmcnt(0)
	v_mul_f32_e32 v108, v94, v110
	v_mul_f32_e32 v106, v93, v110
	v_fma_f32 v44, v46, v95, -v41
	v_fmac_f32_e32 v45, v47, v95
	v_fma_f32 v36, v50, v56, -v36
	v_fmac_f32_e32 v37, v51, v56
	;; [unrolled: 2-line block ×9, first 2 shown]
	ds_write2_b64 v84, v[111:112], v[44:45] offset1:11
	ds_write2_b64 v84, v[56:57], v[97:98] offset0:66 offset1:77
	ds_write2_b64 v84, v[95:96], v[99:100] offset0:22 offset1:33
	;; [unrolled: 1-line block ×4, first 2 shown]
	s_waitcnt lgkmcnt(0)
	s_barrier
	ds_read2_b64 v[44:47], v84 offset1:11
	ds_read2_b64 v[48:51], v84 offset0:44 offset1:55
	ds_read2_b64 v[52:55], v84 offset0:66 offset1:77
	;; [unrolled: 1-line block ×4, first 2 shown]
	s_waitcnt lgkmcnt(0)
	v_sub_f32_e32 v56, v44, v50
	v_sub_f32_e32 v57, v45, v51
	v_sub_f32_e32 v52, v46, v52
	v_sub_f32_e32 v53, v47, v53
	v_sub_f32_e32 v95, v79, v54
	v_sub_f32_e32 v96, v80, v55
	v_sub_f32_e32 v99, v81, v91
	v_sub_f32_e32 v100, v82, v92
	v_sub_f32_e32 v103, v48, v93
	v_sub_f32_e32 v104, v49, v94
	v_fma_f32 v54, v44, 2.0, -v56
	v_fma_f32 v55, v45, 2.0, -v57
	;; [unrolled: 1-line block ×10, first 2 shown]
	s_barrier
	ds_write_b128 v87, v[54:57]
	ds_write_b128 v88, v[50:53]
	;; [unrolled: 1-line block ×5, first 2 shown]
	s_waitcnt lgkmcnt(0)
	s_barrier
	ds_read2_b64 v[44:47], v84 offset0:22 offset1:33
	ds_read2_b64 v[36:39], v84 offset1:11
	ds_read2_b64 v[48:51], v84 offset0:44 offset1:55
	ds_read2_b64 v[52:55], v84 offset0:66 offset1:77
	;; [unrolled: 1-line block ×3, first 2 shown]
	s_waitcnt lgkmcnt(4)
	v_mul_f32_e32 v40, v1, v45
	v_mul_f32_e32 v1, v1, v44
	v_fmac_f32_e32 v40, v0, v44
	v_fma_f32 v41, v0, v45, -v1
	s_waitcnt lgkmcnt(2)
	v_mul_f32_e32 v44, v3, v49
	v_mul_f32_e32 v0, v3, v48
	v_fmac_f32_e32 v44, v2, v48
	v_fma_f32 v45, v2, v49, -v0
	;; [unrolled: 5-line block ×3, first 2 shown]
	s_waitcnt lgkmcnt(0)
	v_mul_f32_e32 v0, v11, v79
	v_fma_f32 v52, v10, v80, -v0
	v_mul_f32_e32 v53, v5, v47
	v_mul_f32_e32 v0, v5, v46
	v_add_f32_e32 v1, v44, v48
	v_mul_f32_e32 v3, v11, v80
	v_fmac_f32_e32 v53, v4, v46
	v_fma_f32 v46, v4, v47, -v0
	v_fma_f32 v4, -0.5, v1, v36
	v_fmac_f32_e32 v3, v10, v79
	v_mul_f32_e32 v47, v7, v51
	v_mul_f32_e32 v0, v7, v50
	v_sub_f32_e32 v1, v41, v52
	v_mov_b32_e32 v2, v4
	v_fmac_f32_e32 v47, v6, v50
	v_fma_f32 v50, v6, v51, -v0
	v_fmac_f32_e32 v2, 0xbf737871, v1
	v_sub_f32_e32 v5, v45, v49
	v_sub_f32_e32 v6, v40, v44
	;; [unrolled: 1-line block ×3, first 2 shown]
	v_fmac_f32_e32 v4, 0x3f737871, v1
	v_fmac_f32_e32 v2, 0xbf167918, v5
	v_add_f32_e32 v6, v6, v7
	v_fmac_f32_e32 v4, 0x3f167918, v5
	v_mul_f32_e32 v51, v13, v55
	v_mul_f32_e32 v0, v13, v54
	v_fmac_f32_e32 v2, 0x3e9e377a, v6
	v_fmac_f32_e32 v4, 0x3e9e377a, v6
	v_add_f32_e32 v6, v40, v3
	v_fmac_f32_e32 v51, v12, v54
	v_fma_f32 v54, v12, v55, -v0
	v_mul_f32_e32 v0, v15, v81
	v_fma_f32 v10, -0.5, v6, v36
	v_fma_f32 v55, v14, v82, -v0
	v_add_f32_e32 v0, v36, v40
	v_mov_b32_e32 v8, v10
	v_add_f32_e32 v0, v0, v44
	v_fmac_f32_e32 v8, 0x3f737871, v5
	v_sub_f32_e32 v6, v44, v40
	v_sub_f32_e32 v7, v48, v3
	v_fmac_f32_e32 v10, 0xbf737871, v5
	v_add_f32_e32 v5, v45, v49
	v_add_f32_e32 v0, v0, v48
	v_fmac_f32_e32 v8, 0xbf167918, v1
	v_add_f32_e32 v6, v6, v7
	v_fmac_f32_e32 v10, 0x3f167918, v1
	v_fma_f32 v5, -0.5, v5, v37
	v_add_f32_e32 v0, v0, v3
	v_fmac_f32_e32 v8, 0x3e9e377a, v6
	v_fmac_f32_e32 v10, 0x3e9e377a, v6
	v_sub_f32_e32 v6, v40, v3
	v_mov_b32_e32 v3, v5
	v_fmac_f32_e32 v3, 0x3f737871, v6
	v_sub_f32_e32 v7, v44, v48
	v_sub_f32_e32 v9, v41, v45
	v_sub_f32_e32 v11, v52, v49
	v_fmac_f32_e32 v5, 0xbf737871, v6
	v_fmac_f32_e32 v3, 0x3f167918, v7
	v_add_f32_e32 v9, v9, v11
	v_fmac_f32_e32 v5, 0xbf167918, v7
	v_fmac_f32_e32 v3, 0x3e9e377a, v9
	;; [unrolled: 1-line block ×3, first 2 shown]
	v_add_f32_e32 v9, v41, v52
	v_fma_f32 v11, -0.5, v9, v37
	v_mul_f32_e32 v13, v15, v82
	v_mov_b32_e32 v9, v11
	v_fmac_f32_e32 v13, v14, v81
	v_fmac_f32_e32 v9, 0xbf737871, v7
	v_sub_f32_e32 v12, v45, v41
	v_sub_f32_e32 v14, v49, v52
	v_fmac_f32_e32 v11, 0x3f737871, v7
	v_add_f32_e32 v7, v47, v51
	v_fmac_f32_e32 v9, 0x3f167918, v6
	v_add_f32_e32 v12, v12, v14
	v_fmac_f32_e32 v11, 0xbf167918, v6
	v_fma_f32 v40, -0.5, v7, v38
	v_fmac_f32_e32 v9, 0x3e9e377a, v12
	v_fmac_f32_e32 v11, 0x3e9e377a, v12
	v_sub_f32_e32 v7, v46, v55
	v_mov_b32_e32 v12, v40
	v_fmac_f32_e32 v12, 0xbf737871, v7
	v_sub_f32_e32 v15, v50, v54
	v_sub_f32_e32 v14, v53, v47
	;; [unrolled: 1-line block ×3, first 2 shown]
	v_fmac_f32_e32 v40, 0x3f737871, v7
	v_fmac_f32_e32 v12, 0xbf167918, v15
	v_add_f32_e32 v14, v14, v36
	v_fmac_f32_e32 v40, 0x3f167918, v15
	v_fmac_f32_e32 v12, 0x3e9e377a, v14
	;; [unrolled: 1-line block ×3, first 2 shown]
	v_add_f32_e32 v14, v53, v13
	v_add_f32_e32 v6, v38, v53
	v_fma_f32 v38, -0.5, v14, v38
	v_mov_b32_e32 v14, v38
	v_add_f32_e32 v1, v37, v41
	v_add_f32_e32 v6, v6, v47
	v_fmac_f32_e32 v14, 0x3f737871, v15
	v_sub_f32_e32 v36, v47, v53
	v_sub_f32_e32 v37, v51, v13
	v_fmac_f32_e32 v38, 0xbf737871, v15
	v_add_f32_e32 v15, v50, v54
	v_add_f32_e32 v6, v6, v51
	v_fmac_f32_e32 v14, 0xbf167918, v7
	v_add_f32_e32 v36, v36, v37
	v_fmac_f32_e32 v38, 0x3f167918, v7
	v_fma_f32 v41, -0.5, v15, v39
	v_add_f32_e32 v6, v6, v13
	v_fmac_f32_e32 v14, 0x3e9e377a, v36
	v_fmac_f32_e32 v38, 0x3e9e377a, v36
	v_sub_f32_e32 v36, v53, v13
	v_mov_b32_e32 v13, v41
	v_fmac_f32_e32 v13, 0x3f737871, v36
	v_sub_f32_e32 v37, v47, v51
	v_sub_f32_e32 v15, v46, v50
	;; [unrolled: 1-line block ×3, first 2 shown]
	v_fmac_f32_e32 v41, 0xbf737871, v36
	v_fmac_f32_e32 v13, 0x3f167918, v37
	v_add_f32_e32 v15, v15, v44
	v_fmac_f32_e32 v41, 0xbf167918, v37
	v_fmac_f32_e32 v13, 0x3e9e377a, v15
	;; [unrolled: 1-line block ×3, first 2 shown]
	v_add_f32_e32 v15, v46, v55
	v_add_f32_e32 v7, v39, v46
	v_fmac_f32_e32 v39, -0.5, v15
	v_mov_b32_e32 v15, v39
	v_add_f32_e32 v1, v1, v45
	v_add_f32_e32 v7, v7, v50
	v_fmac_f32_e32 v15, 0xbf737871, v37
	v_sub_f32_e32 v44, v50, v46
	v_sub_f32_e32 v45, v54, v55
	v_fmac_f32_e32 v39, 0x3f737871, v37
	v_add_f32_e32 v1, v1, v49
	v_add_f32_e32 v7, v7, v54
	v_fmac_f32_e32 v15, 0x3f167918, v36
	v_add_f32_e32 v44, v44, v45
	v_fmac_f32_e32 v39, 0xbf167918, v36
	v_add_f32_e32 v1, v1, v52
	v_add_f32_e32 v7, v7, v55
	v_fmac_f32_e32 v15, 0x3e9e377a, v44
	v_fmac_f32_e32 v39, 0x3e9e377a, v44
	s_barrier
	ds_write2_b64 v90, v[0:1], v[2:3] offset1:2
	ds_write2_b64 v90, v[8:9], v[10:11] offset0:4 offset1:6
	ds_write_b64 v90, v[4:5] offset:64
	ds_write2_b64 v89, v[6:7], v[12:13] offset1:2
	ds_write2_b64 v89, v[14:15], v[38:39] offset0:4 offset1:6
	ds_write_b64 v89, v[40:41] offset:64
	s_waitcnt lgkmcnt(0)
	s_barrier
	s_and_saveexec_b64 s[0:1], vcc
	s_cbranch_execz .LBB0_7
; %bb.6:
	ds_read2_b64 v[0:3], v84 offset1:10
	ds_read2_b64 v[8:11], v84 offset0:20 offset1:30
	ds_read2_b64 v[4:7], v84 offset0:40 offset1:50
	;; [unrolled: 1-line block ×4, first 2 shown]
	ds_read_b64 v[42:43], v84 offset:800
.LBB0_7:
	s_or_b64 exec, exec, s[0:1]
	s_and_saveexec_b64 s[0:1], vcc
	s_cbranch_execz .LBB0_9
; %bb.8:
	s_waitcnt lgkmcnt(5)
	v_mul_f32_e32 v36, v29, v3
	s_waitcnt lgkmcnt(0)
	v_mul_f32_e32 v37, v35, v43
	v_mul_f32_e32 v35, v35, v42
	v_fmac_f32_e32 v36, v28, v2
	v_fmac_f32_e32 v37, v34, v42
	v_fma_f32 v34, v34, v43, -v35
	v_mul_f32_e32 v2, v29, v2
	v_mul_f32_e32 v35, v31, v9
	;; [unrolled: 1-line block ×3, first 2 shown]
	v_sub_f32_e32 v44, v36, v37
	v_fma_f32 v28, v28, v3, -v2
	v_fmac_f32_e32 v35, v30, v8
	v_fmac_f32_e32 v42, v32, v40
	v_mul_f32_e32 v3, v33, v40
	v_mul_f32_e32 v45, 0xbf7d64f0, v44
	v_sub_f32_e32 v43, v35, v42
	v_fma_f32 v32, v32, v41, -v3
	v_mul_f32_e32 v3, v31, v8
	v_add_f32_e32 v29, v34, v28
	v_mov_b32_e32 v2, v45
	v_mul_f32_e32 v46, 0x3e903f40, v43
	v_fma_f32 v30, v30, v9, -v3
	v_fmac_f32_e32 v2, 0xbe11bafb, v29
	v_add_f32_e32 v31, v32, v30
	v_mov_b32_e32 v3, v46
	v_add_f32_e32 v2, v1, v2
	v_fmac_f32_e32 v3, 0xbf75a155, v31
	v_mul_f32_e32 v33, v21, v11
	v_mul_f32_e32 v40, v27, v39
	v_add_f32_e32 v2, v3, v2
	v_fmac_f32_e32 v33, v20, v10
	v_fmac_f32_e32 v40, v26, v38
	v_mul_f32_e32 v3, v27, v38
	v_sub_f32_e32 v41, v33, v40
	v_fma_f32 v26, v26, v39, -v3
	v_mul_f32_e32 v3, v21, v10
	v_mul_f32_e32 v47, 0x3f68dda4, v41
	v_fma_f32 v20, v20, v11, -v3
	v_add_f32_e32 v21, v26, v20
	v_mov_b32_e32 v3, v47
	v_fmac_f32_e32 v3, 0x3ed4b147, v21
	v_mul_f32_e32 v27, v23, v5
	v_mul_f32_e32 v38, v25, v15
	v_add_f32_e32 v2, v3, v2
	v_fmac_f32_e32 v27, v22, v4
	v_fmac_f32_e32 v38, v24, v14
	v_mul_f32_e32 v3, v25, v14
	v_sub_f32_e32 v39, v27, v38
	v_fma_f32 v24, v24, v15, -v3
	v_mul_f32_e32 v3, v23, v4
	v_mul_f32_e32 v10, 0xbf0a6770, v39
	v_fma_f32 v22, v22, v5, -v3
	v_add_f32_e32 v14, v24, v22
	v_mov_b32_e32 v3, v10
	;; [unrolled: 14-line block ×3, first 2 shown]
	v_sub_f32_e32 v17, v28, v34
	s_mov_b32 s4, 0xbe11bafb
	v_fmac_f32_e32 v3, 0xbf27a4f4, v15
	v_add_f32_e32 v49, v37, v36
	v_mul_f32_e32 v12, 0xbf7d64f0, v17
	v_sub_f32_e32 v19, v30, v32
	s_mov_b32 s5, 0xbf75a155
	v_add_f32_e32 v3, v3, v2
	v_fma_f32 v2, v49, s4, -v12
	v_add_f32_e32 v50, v42, v35
	v_mul_f32_e32 v13, 0x3e903f40, v19
	v_sub_f32_e32 v52, v20, v26
	s_mov_b32 s6, 0x3ed4b147
	v_add_f32_e32 v2, v0, v2
	v_fma_f32 v4, v50, s5, -v13
	;; [unrolled: 6-line block ×4, first 2 shown]
	v_add_f32_e32 v57, v25, v23
	v_mul_f32_e32 v80, 0xbf4178ce, v79
	v_add_f32_e32 v2, v4, v2
	v_fma_f32 v4, v57, s12, -v80
	v_mul_f32_e32 v6, 0xbe903f40, v44
	v_add_f32_e32 v2, v4, v2
	v_mov_b32_e32 v4, v6
	v_mul_f32_e32 v7, 0x3f0a6770, v43
	v_fmac_f32_e32 v4, 0xbf75a155, v29
	v_mov_b32_e32 v5, v7
	v_add_f32_e32 v4, v1, v4
	v_fmac_f32_e32 v5, 0x3f575c64, v31
	v_mul_f32_e32 v8, 0xbf4178ce, v41
	v_add_f32_e32 v4, v5, v4
	v_mov_b32_e32 v5, v8
	v_fmac_f32_e32 v5, 0xbf27a4f4, v21
	v_mul_f32_e32 v9, 0x3f68dda4, v39
	v_add_f32_e32 v4, v5, v4
	v_mov_b32_e32 v5, v9
	v_fma_f32 v6, v29, s5, -v6
	v_fmac_f32_e32 v5, 0x3ed4b147, v14
	v_mul_f32_e32 v81, 0xbf7d64f0, v48
	v_add_f32_e32 v6, v1, v6
	v_fma_f32 v7, v31, s7, -v7
	v_add_f32_e32 v4, v5, v4
	v_mov_b32_e32 v5, v81
	v_add_f32_e32 v6, v7, v6
	v_fma_f32 v7, v21, s12, -v8
	v_fmac_f32_e32 v5, 0xbe11bafb, v15
	v_mul_f32_e32 v82, 0xbe903f40, v17
	v_add_f32_e32 v6, v7, v6
	v_fma_f32 v7, v14, s6, -v9
	v_add_f32_e32 v5, v5, v4
	v_fma_f32 v4, v49, s5, -v82
	;; [unrolled: 2-line block ×3, first 2 shown]
	v_fmac_f32_e32 v82, 0xbf75a155, v49
	v_mul_f32_e32 v81, 0xbf27a4f4, v29
	v_mul_f32_e32 v86, 0x3f0a6770, v19
	v_add_f32_e32 v7, v7, v6
	v_add_f32_e32 v6, v0, v82
	v_mov_b32_e32 v8, v81
	v_mul_f32_e32 v82, 0xbe11bafb, v31
	v_add_f32_e32 v4, v0, v4
	v_fma_f32 v87, v50, s7, -v86
	v_fmac_f32_e32 v86, 0x3f575c64, v50
	v_fmac_f32_e32 v8, 0x3f4178ce, v44
	v_mov_b32_e32 v9, v82
	v_add_f32_e32 v4, v87, v4
	v_mul_f32_e32 v87, 0xbf4178ce, v52
	v_add_f32_e32 v6, v86, v6
	v_add_f32_e32 v8, v1, v8
	v_fmac_f32_e32 v9, 0xbf7d64f0, v43
	v_mul_f32_e32 v86, 0x3f575c64, v21
	v_fma_f32 v88, v51, s12, -v87
	v_fmac_f32_e32 v87, 0xbf27a4f4, v51
	v_add_f32_e32 v8, v9, v8
	v_mov_b32_e32 v9, v86
	v_add_f32_e32 v4, v88, v4
	v_mul_f32_e32 v88, 0x3f68dda4, v55
	v_add_f32_e32 v6, v87, v6
	v_fmac_f32_e32 v9, 0x3f0a6770, v41
	v_mul_f32_e32 v87, 0xbf75a155, v14
	v_fma_f32 v89, v54, s6, -v88
	v_fmac_f32_e32 v88, 0x3ed4b147, v54
	v_add_f32_e32 v8, v9, v8
	v_mov_b32_e32 v9, v87
	v_add_f32_e32 v4, v89, v4
	v_mul_f32_e32 v89, 0xbf7d64f0, v79
	v_add_f32_e32 v6, v88, v6
	v_fmac_f32_e32 v9, 0x3e903f40, v39
	v_mul_f32_e32 v88, 0x3ed4b147, v15
	v_fma_f32 v90, v57, s4, -v89
	v_fmac_f32_e32 v89, 0xbe11bafb, v57
	v_add_f32_e32 v8, v9, v8
	v_mov_b32_e32 v9, v88
	v_fma_f32 v45, v29, s4, -v45
	v_add_f32_e32 v6, v89, v6
	v_fmac_f32_e32 v9, 0xbf68dda4, v48
	v_mul_f32_e32 v89, 0xbf4178ce, v17
	v_add_f32_e32 v45, v1, v45
	v_fma_f32 v46, v31, s5, -v46
	v_add_f32_e32 v4, v90, v4
	v_add_f32_e32 v9, v9, v8
	v_mov_b32_e32 v8, v89
	v_mul_f32_e32 v90, 0x3f7d64f0, v19
	v_add_f32_e32 v45, v46, v45
	v_fma_f32 v46, v21, s6, -v47
	v_fmac_f32_e32 v8, 0xbf27a4f4, v49
	v_mov_b32_e32 v91, v90
	v_add_f32_e32 v45, v46, v45
	v_fma_f32 v10, v14, s7, -v10
	v_add_f32_e32 v8, v0, v8
	v_fmac_f32_e32 v91, 0xbe11bafb, v50
	v_add_f32_e32 v10, v10, v45
	v_fma_f32 v11, v15, s12, -v11
	v_fmac_f32_e32 v12, 0xbe11bafb, v49
	v_mul_f32_e32 v45, 0x3ed4b147, v29
	v_add_f32_e32 v8, v91, v8
	v_mul_f32_e32 v91, 0xbf0a6770, v52
	v_add_f32_e32 v11, v11, v10
	v_add_f32_e32 v10, v0, v12
	v_fmac_f32_e32 v13, 0xbf75a155, v50
	v_mov_b32_e32 v12, v45
	v_mul_f32_e32 v46, 0xbf27a4f4, v31
	v_mov_b32_e32 v92, v91
	v_add_f32_e32 v10, v13, v10
	v_fmac_f32_e32 v12, 0x3f68dda4, v44
	v_mov_b32_e32 v13, v46
	v_fmac_f32_e32 v92, 0x3f575c64, v51
	v_add_f32_e32 v12, v1, v12
	v_fmac_f32_e32 v13, 0x3f4178ce, v43
	v_mul_f32_e32 v47, 0xbf75a155, v21
	v_add_f32_e32 v8, v92, v8
	v_mul_f32_e32 v92, 0xbe903f40, v55
	v_fmac_f32_e32 v53, 0x3ed4b147, v51
	v_add_f32_e32 v12, v13, v12
	v_mov_b32_e32 v13, v47
	v_mov_b32_e32 v93, v92
	v_add_f32_e32 v10, v53, v10
	v_fmac_f32_e32 v13, 0xbe903f40, v41
	v_mul_f32_e32 v53, 0xbe11bafb, v14
	v_fmac_f32_e32 v93, 0xbf75a155, v54
	v_fmac_f32_e32 v56, 0x3f575c64, v54
	v_add_f32_e32 v12, v13, v12
	v_mov_b32_e32 v13, v53
	v_add_f32_e32 v8, v93, v8
	v_mul_f32_e32 v93, 0x3f68dda4, v79
	v_add_f32_e32 v10, v56, v10
	v_fmac_f32_e32 v13, 0xbf7d64f0, v39
	v_mul_f32_e32 v56, 0x3f575c64, v15
	v_mov_b32_e32 v94, v93
	v_fmac_f32_e32 v80, 0xbf27a4f4, v57
	v_add_f32_e32 v12, v13, v12
	v_mov_b32_e32 v13, v56
	v_fmac_f32_e32 v94, 0x3ed4b147, v57
	v_add_f32_e32 v10, v80, v10
	v_fmac_f32_e32 v13, 0xbf0a6770, v48
	v_mul_f32_e32 v80, 0xbf68dda4, v17
	v_add_f32_e32 v8, v94, v8
	v_add_f32_e32 v13, v13, v12
	v_mov_b32_e32 v12, v80
	v_mul_f32_e32 v94, 0xbf4178ce, v19
	v_fmac_f32_e32 v12, 0x3ed4b147, v49
	v_mov_b32_e32 v95, v94
	v_add_f32_e32 v12, v0, v12
	v_fmac_f32_e32 v95, 0xbf27a4f4, v50
	v_add_f32_e32 v12, v95, v12
	v_mul_f32_e32 v95, 0x3e903f40, v52
	v_mov_b32_e32 v96, v95
	v_fmac_f32_e32 v96, 0xbf75a155, v51
	v_add_f32_e32 v12, v96, v12
	v_mul_f32_e32 v96, 0x3f7d64f0, v55
	v_mov_b32_e32 v97, v96
	;; [unrolled: 4-line block ×3, first 2 shown]
	v_fmac_f32_e32 v98, 0x3f575c64, v57
	v_mul_f32_e32 v29, 0x3f575c64, v29
	v_add_f32_e32 v12, v98, v12
	v_mov_b32_e32 v98, v29
	v_mul_f32_e32 v31, 0x3ed4b147, v31
	v_fmac_f32_e32 v98, 0x3f0a6770, v44
	v_mov_b32_e32 v99, v31
	v_add_f32_e32 v98, v1, v98
	v_fmac_f32_e32 v99, 0x3f68dda4, v43
	v_add_f32_e32 v98, v99, v98
	v_mul_f32_e32 v99, 0xbe11bafb, v21
	v_mov_b32_e32 v21, v99
	v_fmac_f32_e32 v21, 0x3f7d64f0, v41
	v_add_f32_e32 v21, v21, v98
	v_mul_f32_e32 v98, 0xbf27a4f4, v14
	v_mov_b32_e32 v14, v98
	v_mul_f32_e32 v100, 0xbf75a155, v15
	v_fmac_f32_e32 v14, 0x3f4178ce, v39
	v_mov_b32_e32 v15, v100
	v_add_f32_e32 v14, v14, v21
	v_fmac_f32_e32 v15, 0x3e903f40, v48
	v_mul_f32_e32 v101, 0xbf0a6770, v17
	v_add_f32_e32 v15, v15, v14
	v_mov_b32_e32 v14, v101
	v_mul_f32_e32 v102, 0xbf68dda4, v19
	v_fmac_f32_e32 v14, 0x3f575c64, v49
	v_mov_b32_e32 v17, v102
	v_add_f32_e32 v14, v0, v14
	v_fmac_f32_e32 v17, 0x3ed4b147, v50
	v_mul_f32_e32 v52, 0xbf7d64f0, v52
	v_add_f32_e32 v14, v17, v14
	v_mov_b32_e32 v17, v52
	v_fmac_f32_e32 v17, 0xbe11bafb, v51
	v_mul_f32_e32 v55, 0xbf4178ce, v55
	v_add_f32_e32 v14, v17, v14
	v_mov_b32_e32 v17, v55
	;; [unrolled: 4-line block ×3, first 2 shown]
	v_fmac_f32_e32 v17, 0xbf75a155, v57
	v_add_f32_e32 v14, v17, v14
	v_add_f32_e32 v17, v28, v1
	;; [unrolled: 1-line block ×6, first 2 shown]
	v_fmac_f32_e32 v81, 0xbf4178ce, v44
	v_add_f32_e32 v16, v18, v16
	v_add_f32_e32 v18, v1, v81
	v_fmac_f32_e32 v82, 0x3f7d64f0, v43
	v_add_f32_e32 v18, v82, v18
	v_fmac_f32_e32 v86, 0xbf0a6770, v41
	;; [unrolled: 2-line block ×4, first 2 shown]
	v_add_f32_e32 v19, v88, v18
	v_fma_f32 v18, v49, s12, -v89
	v_add_f32_e32 v18, v0, v18
	v_fma_f32 v20, v50, s4, -v90
	;; [unrolled: 2-line block ×5, first 2 shown]
	v_fmac_f32_e32 v45, 0xbf68dda4, v44
	v_add_f32_e32 v16, v24, v16
	v_add_f32_e32 v18, v20, v18
	;; [unrolled: 1-line block ×3, first 2 shown]
	v_fmac_f32_e32 v46, 0xbf4178ce, v43
	v_add_f32_e32 v16, v26, v16
	v_add_f32_e32 v20, v46, v20
	v_fmac_f32_e32 v47, 0x3e903f40, v41
	v_add_f32_e32 v16, v32, v16
	v_add_f32_e32 v20, v47, v20
	;; [unrolled: 3-line block ×3, first 2 shown]
	v_add_f32_e32 v20, v53, v20
	v_fmac_f32_e32 v56, 0x3f0a6770, v48
	v_add_f32_e32 v16, v35, v16
	v_add_f32_e32 v21, v56, v20
	v_fma_f32 v20, v49, s6, -v80
	v_add_f32_e32 v16, v33, v16
	v_add_f32_e32 v20, v0, v20
	v_fma_f32 v22, v50, s12, -v94
	v_add_f32_e32 v16, v27, v16
	v_add_f32_e32 v20, v22, v20
	v_fma_f32 v22, v51, s5, -v95
	v_add_f32_e32 v16, v23, v16
	v_add_f32_e32 v20, v22, v20
	v_fma_f32 v22, v54, s4, -v96
	v_add_f32_e32 v16, v25, v16
	v_add_f32_e32 v20, v22, v20
	v_fma_f32 v22, v57, s7, -v97
	v_add_f32_e32 v16, v38, v16
	v_add_f32_e32 v20, v22, v20
	v_fmac_f32_e32 v29, 0xbf0a6770, v44
	v_fma_f32 v22, v49, s7, -v101
	v_add_f32_e32 v16, v40, v16
	v_add_f32_e32 v1, v1, v29
	v_fmac_f32_e32 v31, 0xbf68dda4, v43
	v_add_f32_e32 v0, v0, v22
	v_fma_f32 v22, v50, s6, -v102
	v_add_f32_e32 v16, v42, v16
	v_add_f32_e32 v1, v31, v1
	v_fmac_f32_e32 v99, 0xbf7d64f0, v41
	v_add_f32_e32 v0, v22, v0
	;; [unrolled: 5-line block ×3, first 2 shown]
	v_fma_f32 v22, v54, s12, -v55
	v_add_f32_e32 v1, v98, v1
	v_fmac_f32_e32 v100, 0xbe903f40, v48
	v_add_f32_e32 v0, v22, v0
	v_fma_f32 v22, v57, s5, -v79
	ds_write_b64 v84, v[16:17]
	v_lshl_add_u32 v16, v83, 3, v85
	v_add_f32_e32 v1, v100, v1
	v_add_f32_e32 v0, v22, v0
	ds_write2_b64 v16, v[14:15], v[12:13] offset0:10 offset1:20
	ds_write2_b64 v16, v[10:11], v[8:9] offset0:30 offset1:40
	;; [unrolled: 1-line block ×5, first 2 shown]
.LBB0_9:
	s_or_b64 exec, exec, s[0:1]
	s_waitcnt lgkmcnt(4)
	v_mad_u64_u32 v[8:9], s[0:1], s10, v68, 0
	s_waitcnt lgkmcnt(0)
	s_barrier
	ds_read2_b64 v[0:3], v84 offset1:11
	v_mov_b32_e32 v4, v9
	v_mad_u64_u32 v[4:5], s[0:1], s11, v68, v[4:5]
	s_mov_b32 s0, 0x29e4129e
	s_waitcnt lgkmcnt(0)
	v_mul_f32_e32 v5, v78, v1
	v_fmac_f32_e32 v5, v77, v0
	v_cvt_f64_f32_e32 v[5:6], v5
	s_mov_b32 s1, 0x3f829e41
	v_mul_f32_e32 v0, v78, v0
	v_fma_f32 v0, v77, v1, -v0
	v_mul_f64 v[5:6], v[5:6], s[0:1]
	v_cvt_f64_f32_e32 v[0:1], v0
	v_mad_u64_u32 v[10:11], s[4:5], s8, v83, 0
	v_mov_b32_e32 v9, v4
	v_mul_f64 v[0:1], v[0:1], s[0:1]
	v_mov_b32_e32 v4, v11
	v_mov_b32_e32 v14, s3
	v_mad_u64_u32 v[11:12], s[4:5], s9, v83, v[4:5]
	v_cvt_f32_f64_e32 v12, v[5:6]
	ds_read2_b64 v[4:7], v84 offset0:44 offset1:55
	s_mul_hi_u32 s3, s8, 0x1b8
	v_cvt_f32_f64_e32 v13, v[0:1]
	v_lshlrev_b64 v[0:1], 3, v[8:9]
	s_mul_hi_u32 s5, s8, 0xfffffea0
	s_waitcnt lgkmcnt(0)
	v_mul_f32_e32 v8, v74, v7
	v_fmac_f32_e32 v8, v73, v6
	v_mul_f32_e32 v6, v74, v6
	v_fma_f32 v6, v73, v7, -v6
	v_cvt_f64_f32_e32 v[8:9], v8
	v_cvt_f64_f32_e32 v[6:7], v6
	v_add_co_u32_e32 v15, vcc, s2, v0
	v_addc_co_u32_e32 v14, vcc, v14, v1, vcc
	v_mul_f64 v[0:1], v[8:9], s[0:1]
	v_mul_f64 v[6:7], v[6:7], s[0:1]
	v_lshlrev_b64 v[8:9], 3, v[10:11]
	s_mul_i32 s2, s9, 0x1b8
	v_add_co_u32_e32 v8, vcc, v15, v8
	v_addc_co_u32_e32 v9, vcc, v14, v9, vcc
	v_cvt_f32_f64_e32 v0, v[0:1]
	v_cvt_f32_f64_e32 v1, v[6:7]
	v_mul_f32_e32 v6, v72, v3
	v_fmac_f32_e32 v6, v71, v2
	v_mul_f32_e32 v2, v72, v2
	v_fma_f32 v2, v71, v3, -v2
	v_cvt_f64_f32_e32 v[2:3], v2
	v_cvt_f64_f32_e32 v[6:7], v6
	s_add_i32 s2, s3, s2
	s_mul_i32 s3, s8, 0x1b8
	v_mul_f64 v[2:3], v[2:3], s[0:1]
	v_mul_f64 v[6:7], v[6:7], s[0:1]
	global_store_dwordx2 v[8:9], v[12:13], off
	v_mov_b32_e32 v10, s2
	v_add_co_u32_e32 v8, vcc, s3, v8
	v_addc_co_u32_e32 v9, vcc, v9, v10, vcc
	global_store_dwordx2 v[8:9], v[0:1], off
	v_cvt_f32_f64_e32 v11, v[2:3]
	ds_read2_b64 v[0:3], v84 offset0:66 offset1:77
	v_cvt_f32_f64_e32 v10, v[6:7]
	s_mul_i32 s4, s9, 0xfffffea0
	s_sub_i32 s5, s5, s8
	s_add_i32 s4, s5, s4
	s_waitcnt lgkmcnt(0)
	v_mul_f32_e32 v6, v76, v1
	v_fmac_f32_e32 v6, v75, v0
	v_mul_f32_e32 v0, v76, v0
	v_fma_f32 v0, v75, v1, -v0
	v_cvt_f64_f32_e32 v[0:1], v0
	v_cvt_f64_f32_e32 v[6:7], v6
	s_mul_i32 s5, s8, 0xfffffea0
	v_mov_b32_e32 v15, s4
	v_mul_f64 v[0:1], v[0:1], s[0:1]
	v_add_co_u32_e32 v14, vcc, s5, v8
	v_mul_f64 v[12:13], v[6:7], s[0:1]
	v_addc_co_u32_e32 v15, vcc, v9, v15, vcc
	ds_read2_b64 v[6:9], v84 offset0:22 offset1:33
	global_store_dwordx2 v[14:15], v[10:11], off
	v_cvt_f32_f64_e32 v11, v[0:1]
	s_waitcnt lgkmcnt(0)
	v_mul_f32_e32 v0, v70, v7
	v_fmac_f32_e32 v0, v69, v6
	v_mul_f32_e32 v6, v70, v6
	v_fma_f32 v6, v69, v7, -v6
	v_cvt_f64_f32_e32 v[0:1], v0
	v_cvt_f64_f32_e32 v[6:7], v6
	v_cvt_f32_f64_e32 v10, v[12:13]
	v_mov_b32_e32 v13, s2
	v_add_co_u32_e32 v12, vcc, s3, v14
	v_addc_co_u32_e32 v13, vcc, v15, v13, vcc
	v_mul_f64 v[0:1], v[0:1], s[0:1]
	v_mul_f64 v[6:7], v[6:7], s[0:1]
	global_store_dwordx2 v[12:13], v[10:11], off
	v_mul_f32_e32 v10, v67, v3
	v_fmac_f32_e32 v10, v66, v2
	v_mul_f32_e32 v2, v67, v2
	v_fma_f32 v2, v66, v3, -v2
	v_cvt_f64_f32_e32 v[10:11], v10
	v_cvt_f64_f32_e32 v[2:3], v2
	v_cvt_f32_f64_e32 v0, v[0:1]
	v_cvt_f32_f64_e32 v1, v[6:7]
	v_mul_f64 v[6:7], v[10:11], s[0:1]
	v_mul_f64 v[2:3], v[2:3], s[0:1]
	v_mov_b32_e32 v11, s4
	v_add_co_u32_e32 v10, vcc, s5, v12
	v_addc_co_u32_e32 v11, vcc, v13, v11, vcc
	global_store_dwordx2 v[10:11], v[0:1], off
	v_mul_f32_e32 v0, v65, v9
	v_fmac_f32_e32 v0, v64, v8
	v_cvt_f64_f32_e32 v[12:13], v0
	v_mul_f32_e32 v0, v65, v8
	v_fma_f32 v0, v64, v9, -v0
	v_cvt_f32_f64_e32 v6, v[6:7]
	v_cvt_f32_f64_e32 v7, v[2:3]
	v_cvt_f64_f32_e32 v[8:9], v0
	ds_read2_b64 v[0:3], v84 offset0:88 offset1:99
	v_mov_b32_e32 v14, s2
	v_add_co_u32_e32 v10, vcc, s3, v10
	v_addc_co_u32_e32 v11, vcc, v11, v14, vcc
	global_store_dwordx2 v[10:11], v[6:7], off
	v_mul_f64 v[6:7], v[12:13], s[0:1]
	s_waitcnt lgkmcnt(0)
	v_mul_f32_e32 v12, v63, v1
	v_fmac_f32_e32 v12, v62, v0
	v_mul_f32_e32 v0, v63, v0
	v_fma_f32 v0, v62, v1, -v0
	v_mul_f64 v[8:9], v[8:9], s[0:1]
	v_cvt_f64_f32_e32 v[0:1], v0
	v_cvt_f64_f32_e32 v[12:13], v12
	v_cvt_f32_f64_e32 v6, v[6:7]
	v_add_co_u32_e32 v10, vcc, s5, v10
	v_mul_f64 v[0:1], v[0:1], s[0:1]
	v_cvt_f32_f64_e32 v7, v[8:9]
	v_mul_f64 v[8:9], v[12:13], s[0:1]
	v_mov_b32_e32 v12, s4
	v_addc_co_u32_e32 v11, vcc, v11, v12, vcc
	global_store_dwordx2 v[10:11], v[6:7], off
	v_cvt_f32_f64_e32 v7, v[0:1]
	v_mul_f32_e32 v0, v61, v5
	v_fmac_f32_e32 v0, v60, v4
	v_mul_f32_e32 v4, v61, v4
	v_fma_f32 v4, v60, v5, -v4
	v_cvt_f64_f32_e32 v[0:1], v0
	v_cvt_f64_f32_e32 v[4:5], v4
	v_cvt_f32_f64_e32 v6, v[8:9]
	v_mov_b32_e32 v9, s2
	v_add_co_u32_e32 v8, vcc, s3, v10
	v_addc_co_u32_e32 v9, vcc, v11, v9, vcc
	v_mul_f64 v[0:1], v[0:1], s[0:1]
	v_mul_f64 v[4:5], v[4:5], s[0:1]
	global_store_dwordx2 v[8:9], v[6:7], off
	v_mul_f32_e32 v6, v59, v3
	v_fmac_f32_e32 v6, v58, v2
	v_mul_f32_e32 v2, v59, v2
	v_fma_f32 v2, v58, v3, -v2
	v_cvt_f64_f32_e32 v[6:7], v6
	v_cvt_f64_f32_e32 v[2:3], v2
	v_cvt_f32_f64_e32 v0, v[0:1]
	v_cvt_f32_f64_e32 v1, v[4:5]
	v_mul_f64 v[4:5], v[6:7], s[0:1]
	v_mul_f64 v[2:3], v[2:3], s[0:1]
	v_mov_b32_e32 v7, s4
	v_add_co_u32_e32 v6, vcc, s5, v8
	v_addc_co_u32_e32 v7, vcc, v9, v7, vcc
	global_store_dwordx2 v[6:7], v[0:1], off
	v_cvt_f32_f64_e32 v0, v[4:5]
	v_cvt_f32_f64_e32 v1, v[2:3]
	v_mov_b32_e32 v3, s2
	v_add_co_u32_e32 v2, vcc, s3, v6
	v_addc_co_u32_e32 v3, vcc, v7, v3, vcc
	global_store_dwordx2 v[2:3], v[0:1], off
.LBB0_10:
	s_endpgm
	.section	.rodata,"a",@progbits
	.p2align	6, 0x0
	.amdhsa_kernel bluestein_single_back_len110_dim1_sp_op_CI_CI
		.amdhsa_group_segment_fixed_size 15840
		.amdhsa_private_segment_fixed_size 0
		.amdhsa_kernarg_size 104
		.amdhsa_user_sgpr_count 6
		.amdhsa_user_sgpr_private_segment_buffer 1
		.amdhsa_user_sgpr_dispatch_ptr 0
		.amdhsa_user_sgpr_queue_ptr 0
		.amdhsa_user_sgpr_kernarg_segment_ptr 1
		.amdhsa_user_sgpr_dispatch_id 0
		.amdhsa_user_sgpr_flat_scratch_init 0
		.amdhsa_user_sgpr_private_segment_size 0
		.amdhsa_uses_dynamic_stack 0
		.amdhsa_system_sgpr_private_segment_wavefront_offset 0
		.amdhsa_system_sgpr_workgroup_id_x 1
		.amdhsa_system_sgpr_workgroup_id_y 0
		.amdhsa_system_sgpr_workgroup_id_z 0
		.amdhsa_system_sgpr_workgroup_info 0
		.amdhsa_system_vgpr_workitem_id 0
		.amdhsa_next_free_vgpr 163
		.amdhsa_next_free_sgpr 20
		.amdhsa_reserve_vcc 1
		.amdhsa_reserve_flat_scratch 0
		.amdhsa_float_round_mode_32 0
		.amdhsa_float_round_mode_16_64 0
		.amdhsa_float_denorm_mode_32 3
		.amdhsa_float_denorm_mode_16_64 3
		.amdhsa_dx10_clamp 1
		.amdhsa_ieee_mode 1
		.amdhsa_fp16_overflow 0
		.amdhsa_exception_fp_ieee_invalid_op 0
		.amdhsa_exception_fp_denorm_src 0
		.amdhsa_exception_fp_ieee_div_zero 0
		.amdhsa_exception_fp_ieee_overflow 0
		.amdhsa_exception_fp_ieee_underflow 0
		.amdhsa_exception_fp_ieee_inexact 0
		.amdhsa_exception_int_div_zero 0
	.end_amdhsa_kernel
	.text
.Lfunc_end0:
	.size	bluestein_single_back_len110_dim1_sp_op_CI_CI, .Lfunc_end0-bluestein_single_back_len110_dim1_sp_op_CI_CI
                                        ; -- End function
	.section	.AMDGPU.csdata,"",@progbits
; Kernel info:
; codeLenInByte = 9468
; NumSgprs: 24
; NumVgprs: 163
; ScratchSize: 0
; MemoryBound: 0
; FloatMode: 240
; IeeeMode: 1
; LDSByteSize: 15840 bytes/workgroup (compile time only)
; SGPRBlocks: 2
; VGPRBlocks: 40
; NumSGPRsForWavesPerEU: 24
; NumVGPRsForWavesPerEU: 163
; Occupancy: 1
; WaveLimiterHint : 1
; COMPUTE_PGM_RSRC2:SCRATCH_EN: 0
; COMPUTE_PGM_RSRC2:USER_SGPR: 6
; COMPUTE_PGM_RSRC2:TRAP_HANDLER: 0
; COMPUTE_PGM_RSRC2:TGID_X_EN: 1
; COMPUTE_PGM_RSRC2:TGID_Y_EN: 0
; COMPUTE_PGM_RSRC2:TGID_Z_EN: 0
; COMPUTE_PGM_RSRC2:TIDIG_COMP_CNT: 0
	.type	__hip_cuid_18de0ce6d048b6ce,@object ; @__hip_cuid_18de0ce6d048b6ce
	.section	.bss,"aw",@nobits
	.globl	__hip_cuid_18de0ce6d048b6ce
__hip_cuid_18de0ce6d048b6ce:
	.byte	0                               ; 0x0
	.size	__hip_cuid_18de0ce6d048b6ce, 1

	.ident	"AMD clang version 19.0.0git (https://github.com/RadeonOpenCompute/llvm-project roc-6.4.0 25133 c7fe45cf4b819c5991fe208aaa96edf142730f1d)"
	.section	".note.GNU-stack","",@progbits
	.addrsig
	.addrsig_sym __hip_cuid_18de0ce6d048b6ce
	.amdgpu_metadata
---
amdhsa.kernels:
  - .args:
      - .actual_access:  read_only
        .address_space:  global
        .offset:         0
        .size:           8
        .value_kind:     global_buffer
      - .actual_access:  read_only
        .address_space:  global
        .offset:         8
        .size:           8
        .value_kind:     global_buffer
      - .actual_access:  read_only
        .address_space:  global
        .offset:         16
        .size:           8
        .value_kind:     global_buffer
      - .actual_access:  read_only
        .address_space:  global
        .offset:         24
        .size:           8
        .value_kind:     global_buffer
      - .actual_access:  read_only
        .address_space:  global
        .offset:         32
        .size:           8
        .value_kind:     global_buffer
      - .offset:         40
        .size:           8
        .value_kind:     by_value
      - .address_space:  global
        .offset:         48
        .size:           8
        .value_kind:     global_buffer
      - .address_space:  global
        .offset:         56
        .size:           8
        .value_kind:     global_buffer
      - .address_space:  global
        .offset:         64
        .size:           8
        .value_kind:     global_buffer
      - .address_space:  global
        .offset:         72
        .size:           8
        .value_kind:     global_buffer
      - .offset:         80
        .size:           4
        .value_kind:     by_value
      - .address_space:  global
        .offset:         88
        .size:           8
        .value_kind:     global_buffer
      - .address_space:  global
        .offset:         96
        .size:           8
        .value_kind:     global_buffer
    .group_segment_fixed_size: 15840
    .kernarg_segment_align: 8
    .kernarg_segment_size: 104
    .language:       OpenCL C
    .language_version:
      - 2
      - 0
    .max_flat_workgroup_size: 198
    .name:           bluestein_single_back_len110_dim1_sp_op_CI_CI
    .private_segment_fixed_size: 0
    .sgpr_count:     24
    .sgpr_spill_count: 0
    .symbol:         bluestein_single_back_len110_dim1_sp_op_CI_CI.kd
    .uniform_work_group_size: 1
    .uses_dynamic_stack: false
    .vgpr_count:     163
    .vgpr_spill_count: 0
    .wavefront_size: 64
amdhsa.target:   amdgcn-amd-amdhsa--gfx906
amdhsa.version:
  - 1
  - 2
...

	.end_amdgpu_metadata
